;; amdgpu-corpus repo=zjin-lcf/HeCBench kind=compiled arch=gfx90a opt=O3
	.text
	.amdgcn_target "amdgcn-amd-amdhsa--gfx90a"
	.amdhsa_code_object_version 6
	.protected	_Z17scatterAdd_kernelPKiPKfPfiii ; -- Begin function _Z17scatterAdd_kernelPKiPKfPfiii
	.globl	_Z17scatterAdd_kernelPKiPKfPfiii
	.p2align	8
	.type	_Z17scatterAdd_kernelPKiPKfPfiii,@function
_Z17scatterAdd_kernelPKiPKfPfiii:       ; @_Z17scatterAdd_kernelPKiPKfPfiii
; %bb.0:
	s_load_dwordx4 s[8:11], s[4:5], 0x18
	v_bfe_u32 v1, v0, 10, 10
	v_lshlrev_b32_e32 v2, 6, v1
	v_and_b32_e32 v3, 0x3ff, v0
	v_add_u32_e32 v0, v2, v3
	s_waitcnt lgkmcnt(0)
	s_mul_i32 s9, s10, s9
	s_cmp_gt_i32 s9, 0
	s_cselect_b64 s[14:15], -1, 0
	s_cmp_lt_i32 s9, 1
	s_mov_b32 s11, 0
	s_cbranch_scc1 .LBB0_34
; %bb.1:
	s_cmpk_gt_u32 s9, 0x200
	s_movk_i32 s12, 0x200
	s_cbranch_scc0 .LBB0_21
; %bb.2:
	s_add_i32 s0, s9, -1
	s_lshr_b32 s7, s0, 9
	s_add_i32 s0, s7, -1
	s_lshr_b32 s16, s0, 1
	s_add_i32 s16, s16, 1
	s_cmp_lt_u32 s0, 6
	s_mov_b32 s13, 0
	s_cbranch_scc1 .LBB0_22
; %bb.3:
	s_and_b32 s17, s16, -4
	v_mov_b32_e32 v4, 0
	s_branch .LBB0_5
.LBB0_4:                                ;   in Loop: Header=BB0_5 Depth=1
	s_or_b64 exec, exec, s[0:1]
	s_addk_i32 s12, 0x1000
	s_addk_i32 s13, 0x1000
	s_add_i32 s17, s17, -4
	s_cmp_lg_u32 s17, 0
	s_cbranch_scc0 .LBB0_22
.LBB0_5:                                ; =>This Inner Loop Header: Depth=1
	v_add_u32_e32 v5, s12, v0
	v_add_u32_e32 v6, s13, v0
	v_cmp_gt_i32_e32 vcc, s9, v5
	v_cmp_gt_i32_e64 s[0:1], s9, v6
	s_and_saveexec_b64 s[2:3], s[0:1]
	s_cbranch_execz .LBB0_7
; %bb.6:                                ;   in Loop: Header=BB0_5 Depth=1
	v_lshl_add_u32 v6, v6, 2, 0
	ds_write_b32 v6, v4
.LBB0_7:                                ;   in Loop: Header=BB0_5 Depth=1
	s_or_b64 exec, exec, s[2:3]
	s_and_saveexec_b64 s[0:1], vcc
	s_cbranch_execz .LBB0_9
; %bb.8:                                ;   in Loop: Header=BB0_5 Depth=1
	v_lshl_add_u32 v5, v5, 2, 0
	ds_write_b32 v5, v4
.LBB0_9:                                ;   in Loop: Header=BB0_5 Depth=1
	s_or_b64 exec, exec, s[0:1]
	s_add_i32 s0, s13, 0x400
	s_add_i32 s1, s12, 0x400
	v_add_u32_e32 v5, s1, v0
	v_add_u32_e32 v6, s0, v0
	v_cmp_gt_i32_e32 vcc, s9, v5
	v_cmp_gt_i32_e64 s[0:1], s9, v6
	s_and_saveexec_b64 s[2:3], s[0:1]
	s_cbranch_execz .LBB0_11
; %bb.10:                               ;   in Loop: Header=BB0_5 Depth=1
	v_lshl_add_u32 v6, v6, 2, 0
	ds_write_b32 v6, v4
.LBB0_11:                               ;   in Loop: Header=BB0_5 Depth=1
	s_or_b64 exec, exec, s[2:3]
	s_and_saveexec_b64 s[0:1], vcc
	s_cbranch_execz .LBB0_13
; %bb.12:                               ;   in Loop: Header=BB0_5 Depth=1
	v_lshl_add_u32 v5, v5, 2, 0
	ds_write_b32 v5, v4
.LBB0_13:                               ;   in Loop: Header=BB0_5 Depth=1
	s_or_b64 exec, exec, s[0:1]
	s_add_i32 s0, s13, 0x800
	s_add_i32 s1, s12, 0x800
	v_add_u32_e32 v5, s1, v0
	v_add_u32_e32 v6, s0, v0
	v_cmp_gt_i32_e32 vcc, s9, v5
	v_cmp_gt_i32_e64 s[0:1], s9, v6
	s_and_saveexec_b64 s[2:3], s[0:1]
	s_cbranch_execz .LBB0_15
; %bb.14:                               ;   in Loop: Header=BB0_5 Depth=1
	v_lshl_add_u32 v6, v6, 2, 0
	ds_write_b32 v6, v4
.LBB0_15:                               ;   in Loop: Header=BB0_5 Depth=1
	s_or_b64 exec, exec, s[2:3]
	s_and_saveexec_b64 s[0:1], vcc
	s_cbranch_execz .LBB0_17
; %bb.16:                               ;   in Loop: Header=BB0_5 Depth=1
	v_lshl_add_u32 v5, v5, 2, 0
	ds_write_b32 v5, v4
.LBB0_17:                               ;   in Loop: Header=BB0_5 Depth=1
	s_or_b64 exec, exec, s[0:1]
	s_add_i32 s0, s13, 0xc00
	s_add_i32 s1, s12, 0xc00
	v_add_u32_e32 v5, s1, v0
	v_add_u32_e32 v6, s0, v0
	v_cmp_gt_i32_e32 vcc, s9, v5
	v_cmp_gt_i32_e64 s[0:1], s9, v6
	s_and_saveexec_b64 s[2:3], s[0:1]
	s_cbranch_execz .LBB0_19
; %bb.18:                               ;   in Loop: Header=BB0_5 Depth=1
	v_lshl_add_u32 v6, v6, 2, 0
	ds_write_b32 v6, v4
.LBB0_19:                               ;   in Loop: Header=BB0_5 Depth=1
	s_or_b64 exec, exec, s[2:3]
	s_and_saveexec_b64 s[0:1], vcc
	s_cbranch_execz .LBB0_4
; %bb.20:                               ;   in Loop: Header=BB0_5 Depth=1
	v_lshl_add_u32 v5, v5, 2, 0
	ds_write_b32 v5, v4
	s_branch .LBB0_4
.LBB0_21:
	s_mov_b32 s2, 0
	s_cbranch_execnz .LBB0_30
	s_branch .LBB0_34
.LBB0_22:
	s_and_b32 s16, s16, 3
	s_cmp_eq_u32 s16, 0
	s_cbranch_scc1 .LBB0_29
; %bb.23:
	v_mov_b32_e32 v4, 0
	s_branch .LBB0_25
.LBB0_24:                               ;   in Loop: Header=BB0_25 Depth=1
	s_or_b64 exec, exec, s[0:1]
	s_addk_i32 s12, 0x400
	s_addk_i32 s13, 0x400
	s_add_i32 s16, s16, -1
	s_cmp_lg_u32 s16, 0
	s_cbranch_scc0 .LBB0_29
.LBB0_25:                               ; =>This Inner Loop Header: Depth=1
	v_add_u32_e32 v5, s12, v0
	v_add_u32_e32 v6, s13, v0
	v_cmp_gt_i32_e32 vcc, s9, v5
	v_cmp_gt_i32_e64 s[0:1], s9, v6
	s_and_saveexec_b64 s[2:3], s[0:1]
	s_cbranch_execz .LBB0_27
; %bb.26:                               ;   in Loop: Header=BB0_25 Depth=1
	v_lshl_add_u32 v6, v6, 2, 0
	ds_write_b32 v6, v4
.LBB0_27:                               ;   in Loop: Header=BB0_25 Depth=1
	s_or_b64 exec, exec, s[2:3]
	s_and_saveexec_b64 s[0:1], vcc
	s_cbranch_execz .LBB0_24
; %bb.28:                               ;   in Loop: Header=BB0_25 Depth=1
	v_lshl_add_u32 v5, v5, 2, 0
	ds_write_b32 v5, v4
	s_branch .LBB0_24
.LBB0_29:
	s_add_i32 s7, s7, 1
	s_and_b32 s0, s7, 0xfffffe
	s_lshl_b32 s2, s0, 9
	s_cmp_lg_u32 s7, s0
	s_cselect_b64 s[0:1], -1, 0
	s_and_b64 vcc, exec, s[0:1]
	s_cbranch_vccz .LBB0_34
.LBB0_30:
	v_add3_u32 v2, v3, s2, v2
	v_lshl_add_u32 v2, v2, 2, 0
	v_mov_b32_e32 v4, 0
	s_branch .LBB0_32
.LBB0_31:                               ;   in Loop: Header=BB0_32 Depth=1
	s_or_b64 exec, exec, s[0:1]
	s_addk_i32 s2, 0x200
	s_cmp_ge_i32 s2, s9
	v_add_u32_e32 v2, 0x800, v2
	s_cbranch_scc1 .LBB0_34
.LBB0_32:                               ; =>This Inner Loop Header: Depth=1
	v_add_u32_e32 v5, s2, v0
	v_cmp_gt_i32_e32 vcc, s9, v5
	s_and_saveexec_b64 s[0:1], vcc
	s_cbranch_execz .LBB0_31
; %bb.33:                               ;   in Loop: Header=BB0_32 Depth=1
	ds_write_b32 v2, v4
	s_branch .LBB0_31
.LBB0_34:
	s_load_dwordx4 s[0:3], s[4:5], 0x0
	s_load_dwordx2 s[12:13], s[4:5], 0x10
	s_lshl_b32 s4, s9, 2
	s_lshl_b32 s18, s6, 13
	s_add_i32 s19, s4, 0
	s_cmp_lt_i32 s10, 1
	s_cselect_b64 s[4:5], -1, 0
	v_lshl_add_u32 v8, v0, 2, s19
	s_add_i32 s20, s19, 32
	v_lshl_add_u32 v2, v3, 2, 0
	s_lshl_b32 s21, s10, 2
	s_xor_b64 s[4:5], s[4:5], -1
	s_waitcnt lgkmcnt(0)
	s_barrier
	s_branch .LBB0_36
.LBB0_35:                               ;   in Loop: Header=BB0_36 Depth=1
	s_add_i32 s6, s11, 0x200
	s_cmpk_gt_u32 s11, 0x1dff
	s_mov_b32 s11, s6
	s_waitcnt lgkmcnt(0)
	s_barrier
	s_cbranch_scc1 .LBB0_50
.LBB0_36:                               ; =>This Loop Header: Depth=1
                                        ;     Child Loop BB0_40 Depth 2
                                        ;       Child Loop BB0_43 Depth 3
                                        ;       Child Loop BB0_48 Depth 3
	s_add_i32 s22, s11, s18
	v_add_u32_e32 v4, s22, v0
	v_cmp_gt_i32_e32 vcc, s8, v4
	s_and_saveexec_b64 s[6:7], vcc
	s_cbranch_execz .LBB0_38
; %bb.37:                               ;   in Loop: Header=BB0_36 Depth=1
	v_ashrrev_i32_e32 v5, 31, v4
	v_lshlrev_b64 v[4:5], 2, v[4:5]
	v_mov_b32_e32 v6, s1
	v_add_co_u32_e32 v4, vcc, s0, v4
	v_addc_co_u32_e32 v5, vcc, v6, v5, vcc
	global_load_dword v4, v[4:5], off
	s_waitcnt vmcnt(0)
	ds_write_b32 v8, v4
.LBB0_38:                               ;   in Loop: Header=BB0_36 Depth=1
	s_or_b64 exec, exec, s[6:7]
	s_mov_b32 s23, 0
	s_waitcnt lgkmcnt(0)
	s_barrier
	s_branch .LBB0_40
.LBB0_39:                               ;   in Loop: Header=BB0_40 Depth=2
	s_or_b64 exec, exec, s[6:7]
	s_add_i32 s23, s23, 16
	s_cmpk_gt_u32 s24, 0x1f7
	s_cbranch_scc1 .LBB0_35
.LBB0_40:                               ;   Parent Loop BB0_36 Depth=1
                                        ; =>  This Loop Header: Depth=2
                                        ;       Child Loop BB0_43 Depth 3
                                        ;       Child Loop BB0_48 Depth 3
	v_add_u32_e32 v9, s23, v1
	v_add_u32_e32 v4, s22, v9
	v_cmp_gt_i32_e32 vcc, s8, v4
	s_and_b64 s[16:17], vcc, s[4:5]
	s_and_saveexec_b64 s[6:7], s[16:17]
	s_cbranch_execz .LBB0_45
; %bb.41:                               ;   in Loop: Header=BB0_40 Depth=2
	v_lshl_add_u32 v5, v9, 2, s19
	ds_read_b32 v6, v5
	v_mad_i64_i32 v[4:5], s[16:17], v4, s10, 0
	v_lshlrev_b64 v[4:5], 2, v[4:5]
	v_mov_b32_e32 v7, s3
	v_add_co_u32_e32 v10, vcc, s2, v4
	v_addc_co_u32_e32 v11, vcc, v7, v5, vcc
	s_waitcnt lgkmcnt(0)
	v_mad_u64_u32 v[4:5], s[16:17], s21, v6, v[2:3]
	s_mov_b32 s24, 0
	s_branch .LBB0_43
.LBB0_42:                               ;   in Loop: Header=BB0_43 Depth=3
	s_or_b64 exec, exec, s[16:17]
	s_add_i32 s24, s24, 64
	s_cmp_lt_i32 s24, s10
	v_add_u32_e32 v4, 0x100, v4
	s_cbranch_scc0 .LBB0_45
.LBB0_43:                               ;   Parent Loop BB0_36 Depth=1
                                        ;     Parent Loop BB0_40 Depth=2
                                        ; =>    This Inner Loop Header: Depth=3
	v_add_u32_e32 v6, s24, v3
	v_cmp_gt_i32_e32 vcc, s10, v6
	s_and_saveexec_b64 s[16:17], vcc
	s_cbranch_execz .LBB0_42
; %bb.44:                               ;   in Loop: Header=BB0_43 Depth=3
	v_ashrrev_i32_e32 v7, 31, v6
	v_lshlrev_b64 v[6:7], 2, v[6:7]
	v_add_co_u32_e32 v6, vcc, v10, v6
	v_addc_co_u32_e32 v7, vcc, v11, v7, vcc
	global_load_dword v5, v[6:7], off
	s_waitcnt vmcnt(0)
	ds_add_f32 v4, v5
	s_branch .LBB0_42
.LBB0_45:                               ;   in Loop: Header=BB0_40 Depth=2
	s_or_b64 exec, exec, s[6:7]
	s_or_b32 s24, s23, 8
	s_add_i32 s6, s22, s24
	v_add_u32_e32 v4, s6, v1
	v_cmp_gt_i32_e32 vcc, s8, v4
	s_and_b64 s[16:17], vcc, s[4:5]
	s_and_saveexec_b64 s[6:7], s[16:17]
	s_cbranch_execz .LBB0_39
; %bb.46:                               ;   in Loop: Header=BB0_40 Depth=2
	v_lshl_add_u32 v5, v9, 2, s20
	ds_read_b32 v6, v5
	v_mad_i64_i32 v[4:5], s[16:17], v4, s10, 0
	v_lshlrev_b64 v[4:5], 2, v[4:5]
	v_mov_b32_e32 v7, s3
	v_add_co_u32_e32 v9, vcc, s2, v4
	v_addc_co_u32_e32 v10, vcc, v7, v5, vcc
	s_waitcnt lgkmcnt(0)
	v_mad_u64_u32 v[4:5], s[16:17], s21, v6, v[2:3]
	s_mov_b32 s25, 0
	s_branch .LBB0_48
.LBB0_47:                               ;   in Loop: Header=BB0_48 Depth=3
	s_or_b64 exec, exec, s[16:17]
	s_add_i32 s25, s25, 64
	s_cmp_lt_i32 s25, s10
	v_add_u32_e32 v4, 0x100, v4
	s_cbranch_scc0 .LBB0_39
.LBB0_48:                               ;   Parent Loop BB0_36 Depth=1
                                        ;     Parent Loop BB0_40 Depth=2
                                        ; =>    This Inner Loop Header: Depth=3
	v_add_u32_e32 v6, s25, v3
	v_cmp_gt_i32_e32 vcc, s10, v6
	s_and_saveexec_b64 s[16:17], vcc
	s_cbranch_execz .LBB0_47
; %bb.49:                               ;   in Loop: Header=BB0_48 Depth=3
	v_ashrrev_i32_e32 v7, 31, v6
	v_lshlrev_b64 v[6:7], 2, v[6:7]
	v_add_co_u32_e32 v6, vcc, v9, v6
	v_addc_co_u32_e32 v7, vcc, v10, v7, vcc
	global_load_dword v5, v[6:7], off
	s_waitcnt vmcnt(0)
	ds_add_f32 v4, v5
	s_branch .LBB0_47
.LBB0_50:
	s_andn2_b64 vcc, exec, s[14:15]
	s_cbranch_vccnz .LBB0_84
; %bb.51:
	s_add_i32 s0, s9, -1
	s_lshr_b32 s5, s0, 9
	s_add_i32 s5, s5, 1
	s_cmpk_lt_u32 s9, 0xe01
	s_mov_b32 s4, 0
	s_cbranch_scc1 .LBB0_78
; %bb.52:
	s_and_b32 s6, s5, 0xfffff8
	s_add_u32 s7, s12, 0x800
	v_mov_b32_e32 v3, 0
	s_addc_u32 s8, s13, 0
	s_mov_b32 s10, 0
	s_branch .LBB0_54
.LBB0_53:                               ;   in Loop: Header=BB0_54 Depth=1
	s_or_b64 exec, exec, s[0:1]
	s_addk_i32 s4, 0x1000
	s_add_i32 s10, s10, 8
	s_cmp_eq_u32 s10, s6
	s_cbranch_scc1 .LBB0_78
.LBB0_54:                               ; =>This Loop Header: Depth=1
                                        ;     Child Loop BB0_56 Depth 2
                                        ;     Child Loop BB0_59 Depth 2
	;; [unrolled: 1-line block ×8, first 2 shown]
	v_add_u32_e32 v2, s4, v0
	v_cmp_gt_i32_e32 vcc, s9, v2
	v_lshl_add_u32 v1, v2, 2, 0
	s_and_saveexec_b64 s[0:1], vcc
	s_cbranch_execz .LBB0_57
; %bb.55:                               ;   in Loop: Header=BB0_54 Depth=1
	v_lshlrev_b64 v[4:5], 2, v[2:3]
	v_mov_b32_e32 v6, s13
	v_add_co_u32_e32 v4, vcc, s12, v4
	v_addc_co_u32_e32 v5, vcc, v6, v5, vcc
	global_load_dword v7, v[4:5], off
	ds_read_b32 v8, v1
	s_mov_b64 s[2:3], 0
.LBB0_56:                               ;   Parent Loop BB0_54 Depth=1
                                        ; =>  This Inner Loop Header: Depth=2
	s_waitcnt vmcnt(0) lgkmcnt(0)
	v_add_f32_e32 v6, v7, v8
	global_atomic_cmpswap v6, v[4:5], v[6:7], off glc
	s_waitcnt vmcnt(0)
	v_cmp_eq_u32_e32 vcc, v6, v7
	s_or_b64 s[2:3], vcc, s[2:3]
	v_mov_b32_e32 v7, v6
	s_andn2_b64 exec, exec, s[2:3]
	s_cbranch_execnz .LBB0_56
.LBB0_57:                               ;   in Loop: Header=BB0_54 Depth=1
	s_or_b64 exec, exec, s[0:1]
	v_add_u32_e32 v4, 0x200, v2
	v_cmp_gt_i32_e32 vcc, s9, v4
	s_and_saveexec_b64 s[0:1], vcc
	s_cbranch_execz .LBB0_60
; %bb.58:                               ;   in Loop: Header=BB0_54 Depth=1
	v_add_co_u32_e32 v4, vcc, s4, v0
	v_addc_co_u32_e64 v5, s[2:3], 0, 0, vcc
	v_lshlrev_b64 v[4:5], 2, v[4:5]
	v_mov_b32_e32 v6, s8
	v_add_co_u32_e32 v4, vcc, s7, v4
	v_addc_co_u32_e32 v5, vcc, v6, v5, vcc
	global_load_dword v7, v[4:5], off
	ds_read_b32 v8, v1 offset:2048
	s_mov_b64 s[2:3], 0
.LBB0_59:                               ;   Parent Loop BB0_54 Depth=1
                                        ; =>  This Inner Loop Header: Depth=2
	s_waitcnt vmcnt(0) lgkmcnt(0)
	v_add_f32_e32 v6, v7, v8
	global_atomic_cmpswap v6, v[4:5], v[6:7], off glc
	s_waitcnt vmcnt(0)
	v_cmp_eq_u32_e32 vcc, v6, v7
	s_or_b64 s[2:3], vcc, s[2:3]
	v_mov_b32_e32 v7, v6
	s_andn2_b64 exec, exec, s[2:3]
	s_cbranch_execnz .LBB0_59
.LBB0_60:                               ;   in Loop: Header=BB0_54 Depth=1
	s_or_b64 exec, exec, s[0:1]
	v_add_u32_e32 v4, 0x400, v2
	v_cmp_gt_i32_e32 vcc, s9, v4
	s_and_saveexec_b64 s[0:1], vcc
	s_cbranch_execz .LBB0_63
; %bb.61:                               ;   in Loop: Header=BB0_54 Depth=1
	v_mov_b32_e32 v5, v3
	v_lshlrev_b64 v[4:5], 2, v[4:5]
	v_mov_b32_e32 v6, s13
	v_add_co_u32_e32 v4, vcc, s12, v4
	v_addc_co_u32_e32 v5, vcc, v6, v5, vcc
	global_load_dword v7, v[4:5], off
	ds_read_b32 v8, v1 offset:4096
	s_mov_b64 s[2:3], 0
.LBB0_62:                               ;   Parent Loop BB0_54 Depth=1
                                        ; =>  This Inner Loop Header: Depth=2
	s_waitcnt vmcnt(0) lgkmcnt(0)
	v_add_f32_e32 v6, v7, v8
	global_atomic_cmpswap v6, v[4:5], v[6:7], off glc
	s_waitcnt vmcnt(0)
	v_cmp_eq_u32_e32 vcc, v6, v7
	s_or_b64 s[2:3], vcc, s[2:3]
	v_mov_b32_e32 v7, v6
	s_andn2_b64 exec, exec, s[2:3]
	s_cbranch_execnz .LBB0_62
.LBB0_63:                               ;   in Loop: Header=BB0_54 Depth=1
	s_or_b64 exec, exec, s[0:1]
	v_add_u32_e32 v4, 0x600, v2
	v_cmp_gt_i32_e32 vcc, s9, v4
	s_and_saveexec_b64 s[0:1], vcc
	s_cbranch_execz .LBB0_66
; %bb.64:                               ;   in Loop: Header=BB0_54 Depth=1
	v_mov_b32_e32 v5, v3
	v_lshlrev_b64 v[4:5], 2, v[4:5]
	v_mov_b32_e32 v6, s13
	v_add_co_u32_e32 v4, vcc, s12, v4
	v_addc_co_u32_e32 v5, vcc, v6, v5, vcc
	global_load_dword v7, v[4:5], off
	ds_read_b32 v8, v1 offset:6144
	s_mov_b64 s[2:3], 0
.LBB0_65:                               ;   Parent Loop BB0_54 Depth=1
                                        ; =>  This Inner Loop Header: Depth=2
	s_waitcnt vmcnt(0) lgkmcnt(0)
	v_add_f32_e32 v6, v7, v8
	global_atomic_cmpswap v6, v[4:5], v[6:7], off glc
	s_waitcnt vmcnt(0)
	v_cmp_eq_u32_e32 vcc, v6, v7
	s_or_b64 s[2:3], vcc, s[2:3]
	v_mov_b32_e32 v7, v6
	s_andn2_b64 exec, exec, s[2:3]
	s_cbranch_execnz .LBB0_65
.LBB0_66:                               ;   in Loop: Header=BB0_54 Depth=1
	;; [unrolled: 26-line block ×5, first 2 shown]
	s_or_b64 exec, exec, s[0:1]
	v_add_u32_e32 v2, 0xe00, v2
	v_cmp_gt_i32_e32 vcc, s9, v2
	s_and_saveexec_b64 s[0:1], vcc
	s_cbranch_execz .LBB0_53
; %bb.76:                               ;   in Loop: Header=BB0_54 Depth=1
	v_lshlrev_b64 v[4:5], 2, v[2:3]
	v_mov_b32_e32 v2, s13
	v_add_co_u32_e32 v4, vcc, s12, v4
	v_addc_co_u32_e32 v5, vcc, v2, v5, vcc
	global_load_dword v7, v[4:5], off
	ds_read_b32 v1, v1 offset:14336
	s_mov_b64 s[2:3], 0
.LBB0_77:                               ;   Parent Loop BB0_54 Depth=1
                                        ; =>  This Inner Loop Header: Depth=2
	s_waitcnt vmcnt(0) lgkmcnt(0)
	v_add_f32_e32 v6, v7, v1
	global_atomic_cmpswap v2, v[4:5], v[6:7], off glc
	s_waitcnt vmcnt(0)
	v_cmp_eq_u32_e32 vcc, v2, v7
	s_or_b64 s[2:3], vcc, s[2:3]
	v_mov_b32_e32 v7, v2
	s_andn2_b64 exec, exec, s[2:3]
	s_cbranch_execnz .LBB0_77
	s_branch .LBB0_53
.LBB0_78:
	s_and_b32 s5, s5, 7
	s_cmp_eq_u32 s5, 0
	s_mov_b32 s6, 0
	s_cbranch_scc1 .LBB0_84
; %bb.79:
	v_mov_b32_e32 v3, 0
	s_branch .LBB0_81
.LBB0_80:                               ;   in Loop: Header=BB0_81 Depth=1
	s_or_b64 exec, exec, s[0:1]
	s_addk_i32 s4, 0x200
	s_add_i32 s6, s6, 1
	s_cmp_lg_u32 s6, s5
	s_cbranch_scc0 .LBB0_84
.LBB0_81:                               ; =>This Loop Header: Depth=1
                                        ;     Child Loop BB0_83 Depth 2
	v_add_u32_e32 v2, s4, v0
	v_cmp_gt_i32_e32 vcc, s9, v2
	s_and_saveexec_b64 s[0:1], vcc
	s_cbranch_execz .LBB0_80
; %bb.82:                               ;   in Loop: Header=BB0_81 Depth=1
	v_lshlrev_b64 v[4:5], 2, v[2:3]
	v_mov_b32_e32 v1, s13
	v_add_co_u32_e32 v4, vcc, s12, v4
	v_addc_co_u32_e32 v5, vcc, v1, v5, vcc
	global_load_dword v7, v[4:5], off
	v_lshl_add_u32 v1, v2, 2, 0
	ds_read_b32 v1, v1
	s_mov_b64 s[2:3], 0
.LBB0_83:                               ;   Parent Loop BB0_81 Depth=1
                                        ; =>  This Inner Loop Header: Depth=2
	s_waitcnt vmcnt(0) lgkmcnt(0)
	v_add_f32_e32 v6, v7, v1
	global_atomic_cmpswap v2, v[4:5], v[6:7], off glc
	s_waitcnt vmcnt(0)
	v_cmp_eq_u32_e32 vcc, v2, v7
	s_or_b64 s[2:3], vcc, s[2:3]
	v_mov_b32_e32 v7, v2
	s_andn2_b64 exec, exec, s[2:3]
	s_cbranch_execnz .LBB0_83
	s_branch .LBB0_80
.LBB0_84:
	s_endpgm
	.section	.rodata,"a",@progbits
	.p2align	6, 0x0
	.amdhsa_kernel _Z17scatterAdd_kernelPKiPKfPfiii
		.amdhsa_group_segment_fixed_size 0
		.amdhsa_private_segment_fixed_size 0
		.amdhsa_kernarg_size 36
		.amdhsa_user_sgpr_count 6
		.amdhsa_user_sgpr_private_segment_buffer 1
		.amdhsa_user_sgpr_dispatch_ptr 0
		.amdhsa_user_sgpr_queue_ptr 0
		.amdhsa_user_sgpr_kernarg_segment_ptr 1
		.amdhsa_user_sgpr_dispatch_id 0
		.amdhsa_user_sgpr_flat_scratch_init 0
		.amdhsa_user_sgpr_kernarg_preload_length 0
		.amdhsa_user_sgpr_kernarg_preload_offset 0
		.amdhsa_user_sgpr_private_segment_size 0
		.amdhsa_uses_dynamic_stack 0
		.amdhsa_system_sgpr_private_segment_wavefront_offset 0
		.amdhsa_system_sgpr_workgroup_id_x 1
		.amdhsa_system_sgpr_workgroup_id_y 0
		.amdhsa_system_sgpr_workgroup_id_z 0
		.amdhsa_system_sgpr_workgroup_info 0
		.amdhsa_system_vgpr_workitem_id 1
		.amdhsa_next_free_vgpr 12
		.amdhsa_next_free_sgpr 26
		.amdhsa_accum_offset 12
		.amdhsa_reserve_vcc 1
		.amdhsa_reserve_flat_scratch 0
		.amdhsa_float_round_mode_32 0
		.amdhsa_float_round_mode_16_64 0
		.amdhsa_float_denorm_mode_32 3
		.amdhsa_float_denorm_mode_16_64 3
		.amdhsa_dx10_clamp 1
		.amdhsa_ieee_mode 1
		.amdhsa_fp16_overflow 0
		.amdhsa_tg_split 0
		.amdhsa_exception_fp_ieee_invalid_op 0
		.amdhsa_exception_fp_denorm_src 0
		.amdhsa_exception_fp_ieee_div_zero 0
		.amdhsa_exception_fp_ieee_overflow 0
		.amdhsa_exception_fp_ieee_underflow 0
		.amdhsa_exception_fp_ieee_inexact 0
		.amdhsa_exception_int_div_zero 0
	.end_amdhsa_kernel
	.text
.Lfunc_end0:
	.size	_Z17scatterAdd_kernelPKiPKfPfiii, .Lfunc_end0-_Z17scatterAdd_kernelPKiPKfPfiii
                                        ; -- End function
	.section	.AMDGPU.csdata,"",@progbits
; Kernel info:
; codeLenInByte = 2396
; NumSgprs: 30
; NumVgprs: 12
; NumAgprs: 0
; TotalNumVgprs: 12
; ScratchSize: 0
; MemoryBound: 0
; FloatMode: 240
; IeeeMode: 1
; LDSByteSize: 0 bytes/workgroup (compile time only)
; SGPRBlocks: 3
; VGPRBlocks: 1
; NumSGPRsForWavesPerEU: 30
; NumVGPRsForWavesPerEU: 12
; AccumOffset: 12
; Occupancy: 8
; WaveLimiterHint : 0
; COMPUTE_PGM_RSRC2:SCRATCH_EN: 0
; COMPUTE_PGM_RSRC2:USER_SGPR: 6
; COMPUTE_PGM_RSRC2:TRAP_HANDLER: 0
; COMPUTE_PGM_RSRC2:TGID_X_EN: 1
; COMPUTE_PGM_RSRC2:TGID_Y_EN: 0
; COMPUTE_PGM_RSRC2:TGID_Z_EN: 0
; COMPUTE_PGM_RSRC2:TIDIG_COMP_CNT: 1
; COMPUTE_PGM_RSRC3_GFX90A:ACCUM_OFFSET: 2
; COMPUTE_PGM_RSRC3_GFX90A:TG_SPLIT: 0
	.text
	.protected	_Z18scatterAdd2_kernelPKiPKfPfiii ; -- Begin function _Z18scatterAdd2_kernelPKiPKfPfiii
	.globl	_Z18scatterAdd2_kernelPKiPKfPfiii
	.p2align	8
	.type	_Z18scatterAdd2_kernelPKiPKfPfiii,@function
_Z18scatterAdd2_kernelPKiPKfPfiii:      ; @_Z18scatterAdd2_kernelPKiPKfPfiii
; %bb.0:
	s_load_dwordx4 s[8:11], s[4:5], 0x18
	v_bfe_u32 v1, v0, 10, 10
	v_and_b32_e32 v5, 0x3ff, v0
	v_lshl_add_u32 v0, v1, 6, v5
	v_lshlrev_b32_e32 v2, 2, v5
	s_waitcnt lgkmcnt(0)
	s_mul_i32 s9, s10, s9
	v_cmp_gt_i32_e64 s[0:1], s9, v0
	v_cmp_le_i32_e32 vcc, s9, v0
                                        ; implicit-def: $vgpr4
	s_and_saveexec_b64 s[2:3], vcc
	s_xor_b64 s[2:3], exec, s[2:3]
; %bb.1:
	v_lshlrev_b32_e32 v4, 2, v5
; %bb.2:
	s_andn2_saveexec_b64 s[2:3], s[2:3]
	s_cbranch_execz .LBB1_6
; %bb.3:
	v_lshlrev_b32_e32 v3, 8, v1
	v_add3_u32 v3, v3, v2, 0
	s_mov_b64 s[12:13], 0
	v_mov_b32_e32 v4, 0
	v_mov_b32_e32 v6, v0
.LBB1_4:                                ; =>This Inner Loop Header: Depth=1
	v_add_u32_e32 v6, 0x200, v6
	v_cmp_le_i32_e32 vcc, s9, v6
	ds_write_b32 v3, v4
	s_or_b64 s[12:13], vcc, s[12:13]
	v_add_u32_e32 v3, 0x800, v3
	s_andn2_b64 exec, exec, s[12:13]
	s_cbranch_execnz .LBB1_4
; %bb.5:
	s_or_b64 exec, exec, s[12:13]
	v_mov_b32_e32 v4, v2
.LBB1_6:
	s_or_b64 exec, exec, s[2:3]
	s_load_dwordx4 s[12:15], s[4:5], 0x0
	s_load_dwordx2 s[16:17], s[4:5], 0x10
	s_lshl_b32 s2, s9, 2
	s_lshl_b32 s18, s6, 13
	s_add_i32 s19, s2, 0
	s_waitcnt lgkmcnt(0)
	v_mov_b32_e32 v3, s15
	v_add_co_u32_e64 v2, s[2:3], s14, v2
	v_cmp_le_i32_e32 vcc, s10, v5
	s_ashr_i32 s11, s10, 31
	v_addc_co_u32_e64 v3, s[2:3], 0, v3, s[2:3]
	v_or_b32_e32 v11, s18, v1
	s_mov_b32 s20, 0
	v_lshl_add_u32 v10, v0, 2, s19
	s_add_i32 s21, s19, 32
	s_lshl_b64 s[2:3], s[10:11], 2
	v_add_u32_e32 v4, 0, v4
	s_lshl_b32 s11, s10, 2
	v_add_u32_e32 v12, 8, v11
	s_xor_b64 s[4:5], vcc, -1
	s_branch .LBB1_8
.LBB1_7:                                ;   in Loop: Header=BB1_8 Depth=1
	s_add_i32 s6, s20, 0x200
	v_add_u32_e32 v11, 0x200, v11
	v_add_u32_e32 v12, 0x200, v12
	s_cmpk_gt_u32 s20, 0x1dff
	s_mov_b32 s20, s6
	s_waitcnt lgkmcnt(0)
	s_barrier
	s_cbranch_scc1 .LBB1_18
.LBB1_8:                                ; =>This Loop Header: Depth=1
                                        ;     Child Loop BB1_12 Depth 2
                                        ;       Child Loop BB1_14 Depth 3
                                        ;       Child Loop BB1_17 Depth 3
	s_add_i32 s22, s20, s18
	v_add_u32_e32 v6, s22, v0
	v_cmp_gt_i32_e32 vcc, s8, v6
	s_and_saveexec_b64 s[6:7], vcc
	s_cbranch_execz .LBB1_10
; %bb.9:                                ;   in Loop: Header=BB1_8 Depth=1
	v_ashrrev_i32_e32 v7, 31, v6
	v_lshlrev_b64 v[6:7], 2, v[6:7]
	v_mov_b32_e32 v8, s13
	v_add_co_u32_e32 v6, vcc, s12, v6
	v_addc_co_u32_e32 v7, vcc, v8, v7, vcc
	global_load_dword v6, v[6:7], off
	s_waitcnt vmcnt(0)
	ds_write_b32 v10, v6
.LBB1_10:                               ;   in Loop: Header=BB1_8 Depth=1
	s_or_b64 exec, exec, s[6:7]
	s_mov_b32 s23, 0
	v_mov_b32_e32 v13, v12
	v_mov_b32_e32 v14, v11
	s_waitcnt lgkmcnt(0)
	s_barrier
	s_branch .LBB1_12
.LBB1_11:                               ;   in Loop: Header=BB1_12 Depth=2
	s_or_b64 exec, exec, s[6:7]
	s_add_i32 s23, s23, 16
	v_add_u32_e32 v14, 16, v14
	s_cmpk_gt_u32 s24, 0x1f7
	v_add_u32_e32 v13, 16, v13
	s_cbranch_scc1 .LBB1_7
.LBB1_12:                               ;   Parent Loop BB1_8 Depth=1
                                        ; =>  This Loop Header: Depth=2
                                        ;       Child Loop BB1_14 Depth 3
                                        ;       Child Loop BB1_17 Depth 3
	v_add_u32_e32 v15, s23, v1
	v_add_u32_e32 v6, s22, v15
	v_cmp_gt_i32_e32 vcc, s8, v6
	s_and_b64 s[14:15], vcc, s[4:5]
	s_and_saveexec_b64 s[6:7], s[14:15]
	s_cbranch_execz .LBB1_15
; %bb.13:                               ;   in Loop: Header=BB1_12 Depth=2
	v_lshl_add_u32 v9, v15, 2, s19
	ds_read_b32 v9, v9
	v_ashrrev_i32_e32 v8, 31, v14
	v_mad_u64_u32 v[6:7], s[14:15], s2, v14, v[2:3]
	v_mul_lo_u32 v16, s3, v14
	v_mul_lo_u32 v8, s2, v8
	v_add3_u32 v7, v16, v7, v8
	s_waitcnt lgkmcnt(0)
	v_mad_u64_u32 v[8:9], s[14:15], s11, v9, v[4:5]
	s_mov_b64 s[14:15], 0
	v_mov_b32_e32 v9, v5
.LBB1_14:                               ;   Parent Loop BB1_8 Depth=1
                                        ;     Parent Loop BB1_12 Depth=2
                                        ; =>    This Inner Loop Header: Depth=3
	global_load_dword v16, v[6:7], off
	v_add_co_u32_e32 v6, vcc, 0x100, v6
	v_add_u32_e32 v9, 64, v9
	v_addc_co_u32_e32 v7, vcc, 0, v7, vcc
	v_cmp_le_i32_e32 vcc, s10, v9
	s_or_b64 s[14:15], vcc, s[14:15]
	s_waitcnt vmcnt(0)
	ds_add_f32 v8, v16
	v_add_u32_e32 v8, 0x100, v8
	s_andn2_b64 exec, exec, s[14:15]
	s_cbranch_execnz .LBB1_14
.LBB1_15:                               ;   in Loop: Header=BB1_12 Depth=2
	s_or_b64 exec, exec, s[6:7]
	s_or_b32 s24, s23, 8
	s_add_i32 s6, s22, s24
	v_add_u32_e32 v6, s6, v1
	v_cmp_gt_i32_e32 vcc, s8, v6
	s_and_b64 s[14:15], vcc, s[4:5]
	s_and_saveexec_b64 s[6:7], s[14:15]
	s_cbranch_execz .LBB1_11
; %bb.16:                               ;   in Loop: Header=BB1_12 Depth=2
	v_lshl_add_u32 v9, v15, 2, s21
	ds_read_b32 v9, v9
	v_ashrrev_i32_e32 v8, 31, v13
	v_mad_u64_u32 v[6:7], s[14:15], s2, v13, v[2:3]
	v_mul_lo_u32 v15, s3, v13
	v_mul_lo_u32 v8, s2, v8
	v_add3_u32 v7, v15, v7, v8
	s_waitcnt lgkmcnt(0)
	v_mad_u64_u32 v[8:9], s[14:15], s11, v9, v[4:5]
	s_mov_b64 s[14:15], 0
	v_mov_b32_e32 v9, v5
.LBB1_17:                               ;   Parent Loop BB1_8 Depth=1
                                        ;     Parent Loop BB1_12 Depth=2
                                        ; =>    This Inner Loop Header: Depth=3
	global_load_dword v15, v[6:7], off
	v_add_co_u32_e32 v6, vcc, 0x100, v6
	v_add_u32_e32 v9, 64, v9
	v_addc_co_u32_e32 v7, vcc, 0, v7, vcc
	v_cmp_le_i32_e32 vcc, s10, v9
	s_or_b64 s[14:15], vcc, s[14:15]
	s_waitcnt vmcnt(0)
	ds_add_f32 v8, v15
	v_add_u32_e32 v8, 0x100, v8
	s_andn2_b64 exec, exec, s[14:15]
	s_cbranch_execnz .LBB1_17
	s_branch .LBB1_11
.LBB1_18:
	s_and_saveexec_b64 s[2:3], s[0:1]
	s_cbranch_execz .LBB1_23
; %bb.19:
	s_mov_b64 s[0:1], 0
	v_mov_b32_e32 v1, 0
	v_mov_b32_e32 v6, s17
.LBB1_20:                               ; =>This Loop Header: Depth=1
                                        ;     Child Loop BB1_21 Depth 2
	v_lshlrev_b64 v[2:3], 2, v[0:1]
	v_add_co_u32_e32 v2, vcc, s16, v2
	v_addc_co_u32_e32 v3, vcc, v6, v3, vcc
	global_load_dword v5, v[2:3], off
	v_lshl_add_u32 v4, v0, 2, 0
	ds_read_b32 v7, v4
	s_mov_b64 s[2:3], 0
.LBB1_21:                               ;   Parent Loop BB1_20 Depth=1
                                        ; =>  This Inner Loop Header: Depth=2
	s_waitcnt vmcnt(0) lgkmcnt(0)
	v_add_f32_e32 v4, v5, v7
	global_atomic_cmpswap v4, v[2:3], v[4:5], off glc
	s_waitcnt vmcnt(0)
	v_cmp_eq_u32_e32 vcc, v4, v5
	s_or_b64 s[2:3], vcc, s[2:3]
	v_mov_b32_e32 v5, v4
	s_andn2_b64 exec, exec, s[2:3]
	s_cbranch_execnz .LBB1_21
; %bb.22:                               ;   in Loop: Header=BB1_20 Depth=1
	s_or_b64 exec, exec, s[2:3]
	v_add_u32_e32 v0, 0x200, v0
	v_cmp_le_i32_e32 vcc, s9, v0
	s_or_b64 s[0:1], vcc, s[0:1]
	s_andn2_b64 exec, exec, s[0:1]
	s_cbranch_execnz .LBB1_20
.LBB1_23:
	s_endpgm
	.section	.rodata,"a",@progbits
	.p2align	6, 0x0
	.amdhsa_kernel _Z18scatterAdd2_kernelPKiPKfPfiii
		.amdhsa_group_segment_fixed_size 0
		.amdhsa_private_segment_fixed_size 0
		.amdhsa_kernarg_size 36
		.amdhsa_user_sgpr_count 6
		.amdhsa_user_sgpr_private_segment_buffer 1
		.amdhsa_user_sgpr_dispatch_ptr 0
		.amdhsa_user_sgpr_queue_ptr 0
		.amdhsa_user_sgpr_kernarg_segment_ptr 1
		.amdhsa_user_sgpr_dispatch_id 0
		.amdhsa_user_sgpr_flat_scratch_init 0
		.amdhsa_user_sgpr_kernarg_preload_length 0
		.amdhsa_user_sgpr_kernarg_preload_offset 0
		.amdhsa_user_sgpr_private_segment_size 0
		.amdhsa_uses_dynamic_stack 0
		.amdhsa_system_sgpr_private_segment_wavefront_offset 0
		.amdhsa_system_sgpr_workgroup_id_x 1
		.amdhsa_system_sgpr_workgroup_id_y 0
		.amdhsa_system_sgpr_workgroup_id_z 0
		.amdhsa_system_sgpr_workgroup_info 0
		.amdhsa_system_vgpr_workitem_id 1
		.amdhsa_next_free_vgpr 17
		.amdhsa_next_free_sgpr 25
		.amdhsa_accum_offset 20
		.amdhsa_reserve_vcc 1
		.amdhsa_reserve_flat_scratch 0
		.amdhsa_float_round_mode_32 0
		.amdhsa_float_round_mode_16_64 0
		.amdhsa_float_denorm_mode_32 3
		.amdhsa_float_denorm_mode_16_64 3
		.amdhsa_dx10_clamp 1
		.amdhsa_ieee_mode 1
		.amdhsa_fp16_overflow 0
		.amdhsa_tg_split 0
		.amdhsa_exception_fp_ieee_invalid_op 0
		.amdhsa_exception_fp_denorm_src 0
		.amdhsa_exception_fp_ieee_div_zero 0
		.amdhsa_exception_fp_ieee_overflow 0
		.amdhsa_exception_fp_ieee_underflow 0
		.amdhsa_exception_fp_ieee_inexact 0
		.amdhsa_exception_int_div_zero 0
	.end_amdhsa_kernel
	.text
.Lfunc_end1:
	.size	_Z18scatterAdd2_kernelPKiPKfPfiii, .Lfunc_end1-_Z18scatterAdd2_kernelPKiPKfPfiii
                                        ; -- End function
	.section	.AMDGPU.csdata,"",@progbits
; Kernel info:
; codeLenInByte = 876
; NumSgprs: 29
; NumVgprs: 17
; NumAgprs: 0
; TotalNumVgprs: 17
; ScratchSize: 0
; MemoryBound: 0
; FloatMode: 240
; IeeeMode: 1
; LDSByteSize: 0 bytes/workgroup (compile time only)
; SGPRBlocks: 3
; VGPRBlocks: 2
; NumSGPRsForWavesPerEU: 29
; NumVGPRsForWavesPerEU: 17
; AccumOffset: 20
; Occupancy: 8
; WaveLimiterHint : 0
; COMPUTE_PGM_RSRC2:SCRATCH_EN: 0
; COMPUTE_PGM_RSRC2:USER_SGPR: 6
; COMPUTE_PGM_RSRC2:TRAP_HANDLER: 0
; COMPUTE_PGM_RSRC2:TGID_X_EN: 1
; COMPUTE_PGM_RSRC2:TGID_Y_EN: 0
; COMPUTE_PGM_RSRC2:TGID_Z_EN: 0
; COMPUTE_PGM_RSRC2:TIDIG_COMP_CNT: 1
; COMPUTE_PGM_RSRC3_GFX90A:ACCUM_OFFSET: 4
; COMPUTE_PGM_RSRC3_GFX90A:TG_SPLIT: 0
	.text
	.p2alignl 6, 3212836864
	.fill 256, 4, 3212836864
	.type	__hip_cuid_4689f2a13e4e6cd3,@object ; @__hip_cuid_4689f2a13e4e6cd3
	.section	.bss,"aw",@nobits
	.globl	__hip_cuid_4689f2a13e4e6cd3
__hip_cuid_4689f2a13e4e6cd3:
	.byte	0                               ; 0x0
	.size	__hip_cuid_4689f2a13e4e6cd3, 1

	.ident	"AMD clang version 19.0.0git (https://github.com/RadeonOpenCompute/llvm-project roc-6.4.0 25133 c7fe45cf4b819c5991fe208aaa96edf142730f1d)"
	.section	".note.GNU-stack","",@progbits
	.addrsig
	.addrsig_sym buffer
	.addrsig_sym __hip_cuid_4689f2a13e4e6cd3
	.amdgpu_metadata
---
amdhsa.kernels:
  - .agpr_count:     0
    .args:
      - .address_space:  global
        .offset:         0
        .size:           8
        .value_kind:     global_buffer
      - .address_space:  global
        .offset:         8
        .size:           8
        .value_kind:     global_buffer
      - .address_space:  global
        .offset:         16
        .size:           8
        .value_kind:     global_buffer
      - .offset:         24
        .size:           4
        .value_kind:     by_value
      - .offset:         28
        .size:           4
        .value_kind:     by_value
      - .offset:         32
        .size:           4
        .value_kind:     by_value
    .group_segment_fixed_size: 0
    .kernarg_segment_align: 8
    .kernarg_segment_size: 36
    .language:       OpenCL C
    .language_version:
      - 2
      - 0
    .max_flat_workgroup_size: 1024
    .name:           _Z17scatterAdd_kernelPKiPKfPfiii
    .private_segment_fixed_size: 0
    .sgpr_count:     30
    .sgpr_spill_count: 0
    .symbol:         _Z17scatterAdd_kernelPKiPKfPfiii.kd
    .uniform_work_group_size: 1
    .uses_dynamic_stack: false
    .vgpr_count:     12
    .vgpr_spill_count: 0
    .wavefront_size: 64
  - .agpr_count:     0
    .args:
      - .address_space:  global
        .offset:         0
        .size:           8
        .value_kind:     global_buffer
      - .address_space:  global
        .offset:         8
        .size:           8
        .value_kind:     global_buffer
      - .address_space:  global
        .offset:         16
        .size:           8
        .value_kind:     global_buffer
      - .offset:         24
        .size:           4
        .value_kind:     by_value
      - .offset:         28
        .size:           4
        .value_kind:     by_value
      - .offset:         32
        .size:           4
        .value_kind:     by_value
    .group_segment_fixed_size: 0
    .kernarg_segment_align: 8
    .kernarg_segment_size: 36
    .language:       OpenCL C
    .language_version:
      - 2
      - 0
    .max_flat_workgroup_size: 1024
    .name:           _Z18scatterAdd2_kernelPKiPKfPfiii
    .private_segment_fixed_size: 0
    .sgpr_count:     29
    .sgpr_spill_count: 0
    .symbol:         _Z18scatterAdd2_kernelPKiPKfPfiii.kd
    .uniform_work_group_size: 1
    .uses_dynamic_stack: false
    .vgpr_count:     17
    .vgpr_spill_count: 0
    .wavefront_size: 64
amdhsa.target:   amdgcn-amd-amdhsa--gfx90a
amdhsa.version:
  - 1
  - 2
...

	.end_amdgpu_metadata
